;; amdgpu-corpus repo=ROCm/AMDMIGraphX kind=compiled arch=gfx950 opt=O3
	.text
	.amdgcn_target "amdgcn-amd-amdhsa--gfx950"
	.amdhsa_code_object_version 6
	.protected	roialign_f32            ; -- Begin function roialign_f32
	.globl	roialign_f32
	.p2align	8
	.type	roialign_f32,@function
roialign_f32:                           ; @roialign_f32
; %bb.0:
	s_load_dword s3, s[0:1], 0x2c
	s_waitcnt lgkmcnt(0)
	s_and_b32 s3, s3, 0xffff
	s_mul_i32 s2, s2, s3
	v_add_u32_e32 v0, s2, v0
	s_movk_i32 s2, 0x320
	v_cmp_gt_u32_e32 vcc, s2, v0
	s_and_saveexec_b64 s[2:3], vcc
	s_cbranch_execz .LBB0_18
; %bb.1:
	s_load_dwordx8 s[4:11], s[0:1], 0x0
	s_mov_b32 s0, 0xcccd
	v_mul_u32_u24_sdwa v1, v0, s0 dst_sel:DWORD dst_unused:UNUSED_PAD src0_sel:WORD_0 src1_sel:DWORD
	v_lshrrev_b32_e32 v1, 18, v1
	s_movk_i32 s0, 0xcd
	v_mul_lo_u16_sdwa v2, v1, s0 dst_sel:DWORD dst_unused:UNUSED_PAD src0_sel:BYTE_0 src1_sel:DWORD
	v_lshrrev_b16_e32 v3, 12, v2
	v_lshlrev_b32_e32 v4, 3, v3
	v_lshlrev_b16_e32 v3, 2, v3
	v_lshlrev_b32_e32 v3, 2, v3
	s_waitcnt lgkmcnt(0)
	global_load_dword v9, v4, s[8:9]
	v_lshrrev_b16_e32 v11, 10, v2
	global_load_dwordx4 v[4:7], v3, s[6:7]
	v_lshrrev_b16_e32 v2, 6, v2
	v_mov_b32_e32 v3, 4
	v_mul_lo_u16_e32 v10, 5, v1
	v_and_b32_e32 v2, 48, v2
	v_mul_lo_u16_e32 v12, 5, v11
	v_sub_u16_e32 v10, v0, v10
	v_lshlrev_b32_sdwa v2, v3, v2 dst_sel:DWORD dst_unused:UNUSED_PAD src0_sel:DWORD src1_sel:WORD_0
	v_sub_u16_e32 v1, v1, v12
	v_cvt_f32_u32_e32 v11, v10
	v_cvt_f32_ubyte0_e32 v10, v1
	s_mov_b32 s2, 0x40a00000
	s_mov_b32 s8, 0x41800000
	v_mov_b32_e32 v8, 0
	s_waitcnt vmcnt(1)
	v_lshl_or_b32 v1, v9, 10, v2
	s_waitcnt vmcnt(0)
	v_pk_add_f32 v[2:3], v[6:7], v[4:5] neg_lo:[0,1] neg_hi:[0,1]
	s_nop 0
	v_max_f32_e32 v2, 1.0, v2
	v_max_f32_e32 v6, 1.0, v3
	v_div_scale_f32 v3, s[0:1], s2, s2, v2
	v_div_scale_f32 v9, s[0:1], s2, s2, v6
	v_rcp_f32_e32 v12, v3
	v_rcp_f32_e32 v13, v9
	v_div_scale_f32 v7, vcc, v2, s2, v2
	v_fma_f32 v15, -v3, v12, 1.0
	v_fma_f32 v16, -v9, v13, 1.0
	v_fmac_f32_e32 v12, v15, v12
	v_div_scale_f32 v14, s[0:1], v6, s2, v6
	v_fmac_f32_e32 v13, v16, v13
	v_mul_f32_e32 v15, v7, v12
	v_mul_f32_e32 v16, v14, v13
	v_fma_f32 v17, -v3, v15, v7
	v_fma_f32 v18, -v9, v16, v14
	v_fmac_f32_e32 v15, v17, v12
	v_fmac_f32_e32 v16, v18, v13
	v_fma_f32 v3, -v3, v15, v7
	v_fma_f32 v7, -v9, v16, v14
	v_div_fmas_f32 v3, v3, v12, v15
	s_mov_b64 vcc, s[0:1]
	v_div_fixup_f32 v3, v3, s2, v2
	v_div_fmas_f32 v2, v7, v13, v16
	v_div_fixup_f32 v2, v2, s2, v6
	v_pk_fma_f32 v[4:5], v[2:3], v[10:11], v[4:5] op_sel:[0,0,1] op_sel_hi:[1,1,0]
	v_pk_mul_f32 v[6:7], v[2:3], 0.5 op_sel_hi:[1,0]
	v_mov_b32_e32 v9, 0
	v_pk_fma_f32 v[6:7], v[6:7], 0.5, v[4:5] op_sel_hi:[1,0,1]
	s_nop 0
	v_pk_add_f32 v[6:7], v[6:7], 0 op_sel_hi:[1,0]
	s_nop 0
	v_cmp_ngt_f32_e32 vcc, -1.0, v6
	v_cmp_nlt_f32_e64 s[0:1], s8, v6
	s_and_b64 s[0:1], vcc, s[0:1]
	s_and_saveexec_b64 s[2:3], s[0:1]
	s_cbranch_execz .LBB0_5
; %bb.2:
	v_cmp_ngt_f32_e32 vcc, -1.0, v7
	v_cmp_nlt_f32_e64 s[0:1], s8, v7
	s_and_b64 s[0:1], vcc, s[0:1]
	v_mov_b32_e32 v9, 0
	s_and_saveexec_b64 s[6:7], s[0:1]
	s_cbranch_execz .LBB0_4
; %bb.3:
	v_max_f32_e32 v6, v6, v6
	v_max_f32_e32 v6, 0, v6
	;; [unrolled: 1-line block ×3, first 2 shown]
	v_cvt_i32_f32_e32 v9, v6
	v_max_f32_e32 v22, 0, v7
	v_cvt_i32_f32_e32 v24, v22
	v_mov_b32_e32 v7, 0x41700000
	v_cmp_gt_u32_e32 vcc, 15, v9
	v_lshl_add_u32 v10, v9, 4, 16
	v_min_u32_e32 v23, 15, v9
	v_cndmask_b32_e32 v7, v7, v6, vcc
	v_add_u32_e32 v6, 1, v24
	v_min_u32_e32 v9, 15, v24
	v_cmp_gt_u32_e64 s[0:1], 15, v24
	v_lshlrev_b32_e32 v14, 4, v23
	v_mov_b32_e32 v11, 0xf0
	v_cndmask_b32_e64 v6, 15, v6, s[0:1]
	v_or_b32_e32 v9, v9, v1
	v_cndmask_b32_e32 v18, v11, v10, vcc
	v_or_b32_e32 v10, v9, v14
	v_mov_b32_e32 v11, 0
	v_add_u32_e32 v6, v6, v1
	v_lshl_add_u64 v[12:13], v[10:11], 2, s[4:5]
	v_add_u32_e32 v10, v6, v14
	v_lshl_add_u64 v[14:15], v[10:11], 2, s[4:5]
	v_add_u32_e32 v10, v18, v9
	v_lshl_add_u64 v[16:17], v[10:11], 2, s[4:5]
	v_add_u32_e32 v10, v6, v18
	v_lshl_add_u64 v[10:11], v[10:11], 2, s[4:5]
	global_load_dword v19, v[10:11], off
	global_load_dword v20, v[12:13], off
	;; [unrolled: 1-line block ×4, first 2 shown]
	v_cvt_f32_i32_e32 v6, v24
	v_cvt_f32_ubyte0_e32 v11, v23
	v_sub_f32_e32 v6, v22, v6
	v_cndmask_b32_e64 v10, 0, v6, s[0:1]
	v_mov_b32_e32 v6, 1.0
	v_pk_add_f32 v[6:7], v[6:7], v[10:11] neg_lo:[0,1] neg_hi:[0,1]
	s_nop 0
	v_sub_f32_e32 v12, 1.0, v7
	v_mov_b32_e32 v13, v6
	v_pk_mul_f32 v[14:15], v[6:7], v[12:13]
	v_mov_b32_e32 v13, v7
	v_pk_mul_f32 v[6:7], v[10:11], v[12:13] op_sel_hi:[0,1]
	s_waitcnt vmcnt(1)
	v_pk_mul_f32 v[6:7], v[6:7], v[18:19]
	s_waitcnt vmcnt(0)
	v_pk_fma_f32 v[6:7], v[14:15], v[20:21], v[6:7]
	s_nop 0
	v_add_f32_e32 v6, v6, v7
	v_add_f32_e32 v9, 0, v6
.LBB0_4:
	s_or_b64 exec, exec, s[6:7]
.LBB0_5:
	s_or_b64 exec, exec, s[2:3]
	s_mov_b32 s2, 0.5
	s_mov_b32 s3, 0x3fc00000
	v_pk_mul_f32 v[6:7], v[2:3], s[2:3]
	s_nop 0
	v_pk_fma_f32 v[6:7], v[6:7], 0.5, v[4:5] op_sel_hi:[1,0,1]
	s_nop 0
	v_pk_add_f32 v[6:7], v[6:7], 0 op_sel_hi:[1,0]
	s_nop 0
	v_cmp_ngt_f32_e32 vcc, -1.0, v6
	v_cmp_nlt_f32_e64 s[0:1], s8, v6
	s_and_b64 s[0:1], vcc, s[0:1]
	s_and_saveexec_b64 s[6:7], s[0:1]
	s_cbranch_execz .LBB0_9
; %bb.6:
	s_mov_b32 s0, 0x41800000
	v_cmp_ngt_f32_e32 vcc, -1.0, v7
	v_cmp_nlt_f32_e64 s[0:1], s0, v7
	s_and_b64 s[0:1], vcc, s[0:1]
	v_mov_b32_e32 v8, 0
	s_and_saveexec_b64 s[8:9], s[0:1]
	s_cbranch_execz .LBB0_8
; %bb.7:
	v_max_f32_e32 v6, v6, v6
	v_max_f32_e32 v6, 0, v6
	;; [unrolled: 1-line block ×3, first 2 shown]
	v_cvt_i32_f32_e32 v8, v6
	v_max_f32_e32 v22, 0, v7
	v_cvt_i32_f32_e32 v24, v22
	v_mov_b32_e32 v7, 0x41700000
	v_cmp_gt_u32_e32 vcc, 15, v8
	v_lshl_add_u32 v10, v8, 4, 16
	v_min_u32_e32 v23, 15, v8
	v_cndmask_b32_e32 v7, v7, v6, vcc
	v_add_u32_e32 v6, 1, v24
	v_min_u32_e32 v8, 15, v24
	v_cmp_gt_u32_e64 s[0:1], 15, v24
	v_lshlrev_b32_e32 v14, 4, v23
	v_mov_b32_e32 v11, 0xf0
	v_cndmask_b32_e64 v6, 15, v6, s[0:1]
	v_or_b32_e32 v8, v8, v1
	v_cndmask_b32_e32 v18, v11, v10, vcc
	v_or_b32_e32 v10, v8, v14
	v_mov_b32_e32 v11, 0
	v_add_u32_e32 v6, v6, v1
	v_lshl_add_u64 v[12:13], v[10:11], 2, s[4:5]
	v_add_u32_e32 v10, v6, v14
	v_lshl_add_u64 v[14:15], v[10:11], 2, s[4:5]
	;; [unrolled: 2-line block ×4, first 2 shown]
	global_load_dword v19, v[10:11], off
	global_load_dword v20, v[12:13], off
	;; [unrolled: 1-line block ×4, first 2 shown]
	v_cvt_f32_i32_e32 v6, v24
	v_cvt_f32_ubyte0_e32 v11, v23
	v_sub_f32_e32 v6, v22, v6
	v_cndmask_b32_e64 v10, 0, v6, s[0:1]
	v_mov_b32_e32 v6, 1.0
	v_pk_add_f32 v[6:7], v[6:7], v[10:11] neg_lo:[0,1] neg_hi:[0,1]
	s_nop 0
	v_sub_f32_e32 v12, 1.0, v7
	v_mov_b32_e32 v13, v6
	v_pk_mul_f32 v[14:15], v[6:7], v[12:13]
	v_mov_b32_e32 v13, v7
	v_pk_mul_f32 v[6:7], v[10:11], v[12:13] op_sel_hi:[0,1]
	s_waitcnt vmcnt(1)
	v_pk_mul_f32 v[6:7], v[6:7], v[18:19]
	s_waitcnt vmcnt(0)
	v_pk_fma_f32 v[6:7], v[14:15], v[20:21], v[6:7]
	s_nop 0
	v_add_f32_e32 v8, v6, v7
.LBB0_8:
	s_or_b64 exec, exec, s[8:9]
.LBB0_9:
	s_or_b64 exec, exec, s[6:7]
	s_mov_b32 s0, s3
	s_mov_b32 s1, s2
	v_pk_mul_f32 v[6:7], v[2:3], s[0:1]
	s_mov_b32 s8, 0x41800000
	v_pk_fma_f32 v[6:7], v[6:7], 0.5, v[4:5] op_sel_hi:[1,0,1]
	v_mov_b32_e32 v10, 0
	v_pk_add_f32 v[6:7], v[6:7], 0 op_sel_hi:[1,0]
	v_mov_b32_e32 v11, 0
	v_cmp_ngt_f32_e32 vcc, -1.0, v6
	v_cmp_nlt_f32_e64 s[0:1], s8, v6
	s_and_b64 s[0:1], vcc, s[0:1]
	s_and_saveexec_b64 s[2:3], s[0:1]
	s_cbranch_execz .LBB0_13
; %bb.10:
	v_cmp_ngt_f32_e32 vcc, -1.0, v7
	v_cmp_nlt_f32_e64 s[0:1], s8, v7
	s_and_b64 s[0:1], vcc, s[0:1]
	v_mov_b32_e32 v11, 0
	s_and_saveexec_b64 s[6:7], s[0:1]
	s_cbranch_execz .LBB0_12
; %bb.11:
	v_max_f32_e32 v6, v6, v6
	v_max_f32_e32 v6, 0, v6
	;; [unrolled: 1-line block ×3, first 2 shown]
	v_cvt_i32_f32_e32 v11, v6
	v_max_f32_e32 v24, 0, v7
	v_cvt_i32_f32_e32 v26, v24
	v_mov_b32_e32 v7, 0x41700000
	v_cmp_gt_u32_e32 vcc, 15, v11
	v_lshl_add_u32 v12, v11, 4, 16
	v_min_u32_e32 v25, 15, v11
	v_cndmask_b32_e32 v7, v7, v6, vcc
	v_add_u32_e32 v6, 1, v26
	v_min_u32_e32 v11, 15, v26
	v_cmp_gt_u32_e64 s[0:1], 15, v26
	v_lshlrev_b32_e32 v16, 4, v25
	v_mov_b32_e32 v13, 0xf0
	v_cndmask_b32_e64 v6, 15, v6, s[0:1]
	v_or_b32_e32 v11, v11, v1
	v_cndmask_b32_e32 v20, v13, v12, vcc
	v_or_b32_e32 v12, v11, v16
	v_mov_b32_e32 v13, 0
	v_add_u32_e32 v6, v6, v1
	v_lshl_add_u64 v[14:15], v[12:13], 2, s[4:5]
	v_add_u32_e32 v12, v6, v16
	v_lshl_add_u64 v[16:17], v[12:13], 2, s[4:5]
	;; [unrolled: 2-line block ×4, first 2 shown]
	global_load_dword v21, v[12:13], off
	global_load_dword v22, v[14:15], off
	;; [unrolled: 1-line block ×4, first 2 shown]
	v_cvt_f32_i32_e32 v6, v26
	v_cvt_f32_ubyte0_e32 v13, v25
	v_sub_f32_e32 v6, v24, v6
	v_cndmask_b32_e64 v12, 0, v6, s[0:1]
	v_mov_b32_e32 v6, 1.0
	v_pk_add_f32 v[6:7], v[6:7], v[12:13] neg_lo:[0,1] neg_hi:[0,1]
	s_nop 0
	v_sub_f32_e32 v14, 1.0, v7
	v_mov_b32_e32 v15, v6
	v_pk_mul_f32 v[16:17], v[6:7], v[14:15]
	v_mov_b32_e32 v15, v7
	v_pk_mul_f32 v[6:7], v[12:13], v[14:15] op_sel_hi:[0,1]
	s_waitcnt vmcnt(1)
	v_pk_mul_f32 v[6:7], v[6:7], v[20:21]
	s_waitcnt vmcnt(0)
	v_pk_fma_f32 v[6:7], v[16:17], v[22:23], v[6:7]
	s_nop 0
	v_add_f32_e32 v11, v6, v7
.LBB0_12:
	s_or_b64 exec, exec, s[6:7]
.LBB0_13:
	s_or_b64 exec, exec, s[2:3]
	s_mov_b32 s0, 0x3fc00000
	v_pk_mul_f32 v[2:3], v[2:3], s[0:1] op_sel_hi:[1,0]
	s_nop 0
	v_pk_fma_f32 v[2:3], v[2:3], 0.5, v[4:5] op_sel_hi:[1,0,1]
	s_nop 0
	v_pk_add_f32 v[2:3], v[2:3], 0 op_sel_hi:[1,0]
	s_nop 0
	v_cmp_ngt_f32_e32 vcc, -1.0, v2
	v_cmp_nlt_f32_e64 s[0:1], s8, v2
	s_and_b64 s[0:1], vcc, s[0:1]
	s_and_saveexec_b64 s[2:3], s[0:1]
	s_cbranch_execz .LBB0_17
; %bb.14:
	s_mov_b32 s0, 0x41800000
	v_cmp_ngt_f32_e32 vcc, -1.0, v3
	v_cmp_nlt_f32_e64 s[0:1], s0, v3
	s_and_b64 s[0:1], vcc, s[0:1]
	v_mov_b32_e32 v10, 0
	s_and_saveexec_b64 s[6:7], s[0:1]
	s_cbranch_execz .LBB0_16
; %bb.15:
	v_max_f32_e32 v2, v2, v2
	v_max_f32_e32 v2, 0, v2
	;; [unrolled: 1-line block ×3, first 2 shown]
	v_cvt_i32_f32_e32 v4, v2
	v_max_f32_e32 v10, 0, v3
	v_cvt_i32_f32_e32 v21, v10
	v_mov_b32_e32 v3, 0x41700000
	v_cmp_gt_u32_e32 vcc, 15, v4
	v_lshl_add_u32 v5, v4, 4, 16
	v_min_u32_e32 v20, 15, v4
	v_cndmask_b32_e32 v3, v3, v2, vcc
	v_add_u32_e32 v2, 1, v21
	v_min_u32_e32 v4, 15, v21
	v_cmp_gt_u32_e64 s[0:1], 15, v21
	v_lshlrev_b32_e32 v12, 4, v20
	v_mov_b32_e32 v6, 0xf0
	v_cndmask_b32_e64 v2, 15, v2, s[0:1]
	v_or_b32_e32 v14, v4, v1
	v_cndmask_b32_e32 v16, v6, v5, vcc
	v_or_b32_e32 v4, v14, v12
	v_mov_b32_e32 v5, 0
	v_add_u32_e32 v1, v2, v1
	v_lshl_add_u64 v[6:7], v[4:5], 2, s[4:5]
	v_add_u32_e32 v4, v1, v12
	v_lshl_add_u64 v[12:13], v[4:5], 2, s[4:5]
	;; [unrolled: 2-line block ×4, first 2 shown]
	global_load_dword v17, v[4:5], off
	global_load_dword v18, v[6:7], off
	;; [unrolled: 1-line block ×4, first 2 shown]
	v_cvt_f32_i32_e32 v1, v21
	v_cvt_f32_ubyte0_e32 v5, v20
	v_mov_b32_e32 v2, 1.0
	v_sub_f32_e32 v1, v10, v1
	v_cndmask_b32_e64 v4, 0, v1, s[0:1]
	v_pk_add_f32 v[2:3], v[2:3], v[4:5] neg_lo:[0,1] neg_hi:[0,1]
	s_nop 0
	v_sub_f32_e32 v6, 1.0, v3
	v_mov_b32_e32 v7, v2
	v_pk_mul_f32 v[12:13], v[2:3], v[6:7]
	v_mov_b32_e32 v7, v3
	v_pk_mul_f32 v[2:3], v[4:5], v[6:7] op_sel_hi:[0,1]
	s_waitcnt vmcnt(1)
	v_pk_mul_f32 v[2:3], v[2:3], v[16:17]
	s_waitcnt vmcnt(0)
	v_pk_fma_f32 v[2:3], v[12:13], v[18:19], v[2:3]
	s_nop 0
	v_add_f32_e32 v10, v2, v3
.LBB0_16:
	s_or_b64 exec, exec, s[6:7]
.LBB0_17:
	s_or_b64 exec, exec, s[2:3]
	v_add_f32_e32 v1, v9, v8
	v_add_f32_e32 v1, v1, v11
	;; [unrolled: 1-line block ×3, first 2 shown]
	v_mov_b32_e32 v2, s10
	v_mov_b32_e32 v3, s11
	v_mul_f32_e32 v4, 0x3e800000, v1
	v_mov_b32_e32 v1, 0
	v_lshl_add_u64 v[0:1], v[0:1], 2, v[2:3]
	global_store_dword v[0:1], v4, off
.LBB0_18:
	s_endpgm
	.section	.rodata,"a",@progbits
	.p2align	6, 0x0
	.amdhsa_kernel roialign_f32
		.amdhsa_group_segment_fixed_size 0
		.amdhsa_private_segment_fixed_size 0
		.amdhsa_kernarg_size 288
		.amdhsa_user_sgpr_count 2
		.amdhsa_user_sgpr_dispatch_ptr 0
		.amdhsa_user_sgpr_queue_ptr 0
		.amdhsa_user_sgpr_kernarg_segment_ptr 1
		.amdhsa_user_sgpr_dispatch_id 0
		.amdhsa_user_sgpr_kernarg_preload_length 0
		.amdhsa_user_sgpr_kernarg_preload_offset 0
		.amdhsa_user_sgpr_private_segment_size 0
		.amdhsa_uses_dynamic_stack 0
		.amdhsa_enable_private_segment 0
		.amdhsa_system_sgpr_workgroup_id_x 1
		.amdhsa_system_sgpr_workgroup_id_y 0
		.amdhsa_system_sgpr_workgroup_id_z 0
		.amdhsa_system_sgpr_workgroup_info 0
		.amdhsa_system_vgpr_workitem_id 0
		.amdhsa_next_free_vgpr 27
		.amdhsa_next_free_sgpr 12
		.amdhsa_accum_offset 28
		.amdhsa_reserve_vcc 1
		.amdhsa_float_round_mode_32 0
		.amdhsa_float_round_mode_16_64 0
		.amdhsa_float_denorm_mode_32 3
		.amdhsa_float_denorm_mode_16_64 3
		.amdhsa_dx10_clamp 1
		.amdhsa_ieee_mode 1
		.amdhsa_fp16_overflow 0
		.amdhsa_tg_split 0
		.amdhsa_exception_fp_ieee_invalid_op 0
		.amdhsa_exception_fp_denorm_src 0
		.amdhsa_exception_fp_ieee_div_zero 0
		.amdhsa_exception_fp_ieee_overflow 0
		.amdhsa_exception_fp_ieee_underflow 0
		.amdhsa_exception_fp_ieee_inexact 0
		.amdhsa_exception_int_div_zero 0
	.end_amdhsa_kernel
	.text
.Lfunc_end0:
	.size	roialign_f32, .Lfunc_end0-roialign_f32
                                        ; -- End function
	.section	.AMDGPU.csdata,"",@progbits
; Kernel info:
; codeLenInByte = 1988
; NumSgprs: 18
; NumVgprs: 27
; NumAgprs: 0
; TotalNumVgprs: 27
; ScratchSize: 0
; MemoryBound: 0
; FloatMode: 240
; IeeeMode: 1
; LDSByteSize: 0 bytes/workgroup (compile time only)
; SGPRBlocks: 2
; VGPRBlocks: 3
; NumSGPRsForWavesPerEU: 18
; NumVGPRsForWavesPerEU: 27
; AccumOffset: 28
; Occupancy: 8
; WaveLimiterHint : 1
; COMPUTE_PGM_RSRC2:SCRATCH_EN: 0
; COMPUTE_PGM_RSRC2:USER_SGPR: 2
; COMPUTE_PGM_RSRC2:TRAP_HANDLER: 0
; COMPUTE_PGM_RSRC2:TGID_X_EN: 1
; COMPUTE_PGM_RSRC2:TGID_Y_EN: 0
; COMPUTE_PGM_RSRC2:TGID_Z_EN: 0
; COMPUTE_PGM_RSRC2:TIDIG_COMP_CNT: 0
; COMPUTE_PGM_RSRC3_GFX90A:ACCUM_OFFSET: 6
; COMPUTE_PGM_RSRC3_GFX90A:TG_SPLIT: 0
	.text
	.p2alignl 6, 3212836864
	.fill 256, 4, 3212836864
	.type	__hip_cuid_e2b5e0e7fe8cf1c7,@object ; @__hip_cuid_e2b5e0e7fe8cf1c7
	.section	.bss,"aw",@nobits
	.globl	__hip_cuid_e2b5e0e7fe8cf1c7
__hip_cuid_e2b5e0e7fe8cf1c7:
	.byte	0                               ; 0x0
	.size	__hip_cuid_e2b5e0e7fe8cf1c7, 1

	.ident	"AMD clang version 19.0.0git (https://github.com/RadeonOpenCompute/llvm-project roc-6.4.0 25133 c7fe45cf4b819c5991fe208aaa96edf142730f1d)"
	.section	".note.GNU-stack","",@progbits
	.addrsig
	.addrsig_sym __hip_cuid_e2b5e0e7fe8cf1c7
	.amdgpu_metadata
---
amdhsa.kernels:
  - .agpr_count:     0
    .args:
      - .address_space:  global
        .offset:         0
        .size:           8
        .value_kind:     global_buffer
      - .address_space:  global
        .offset:         8
        .size:           8
        .value_kind:     global_buffer
      - .address_space:  global
        .offset:         16
        .size:           8
        .value_kind:     global_buffer
      - .address_space:  global
        .offset:         24
        .size:           8
        .value_kind:     global_buffer
      - .offset:         32
        .size:           4
        .value_kind:     hidden_block_count_x
      - .offset:         36
        .size:           4
        .value_kind:     hidden_block_count_y
      - .offset:         40
        .size:           4
        .value_kind:     hidden_block_count_z
      - .offset:         44
        .size:           2
        .value_kind:     hidden_group_size_x
      - .offset:         46
        .size:           2
        .value_kind:     hidden_group_size_y
      - .offset:         48
        .size:           2
        .value_kind:     hidden_group_size_z
      - .offset:         50
        .size:           2
        .value_kind:     hidden_remainder_x
      - .offset:         52
        .size:           2
        .value_kind:     hidden_remainder_y
      - .offset:         54
        .size:           2
        .value_kind:     hidden_remainder_z
      - .offset:         72
        .size:           8
        .value_kind:     hidden_global_offset_x
      - .offset:         80
        .size:           8
        .value_kind:     hidden_global_offset_y
      - .offset:         88
        .size:           8
        .value_kind:     hidden_global_offset_z
      - .offset:         96
        .size:           2
        .value_kind:     hidden_grid_dims
    .group_segment_fixed_size: 0
    .kernarg_segment_align: 8
    .kernarg_segment_size: 288
    .language:       OpenCL C
    .language_version:
      - 2
      - 0
    .max_flat_workgroup_size: 1024
    .name:           roialign_f32
    .private_segment_fixed_size: 0
    .sgpr_count:     18
    .sgpr_spill_count: 0
    .symbol:         roialign_f32.kd
    .uniform_work_group_size: 1
    .uses_dynamic_stack: false
    .vgpr_count:     27
    .vgpr_spill_count: 0
    .wavefront_size: 64
amdhsa.target:   amdgcn-amd-amdhsa--gfx950
amdhsa.version:
  - 1
  - 2
...

	.end_amdgpu_metadata
